;; amdgpu-corpus repo=ROCm/rocFFT kind=compiled arch=gfx906 opt=O3
	.text
	.amdgcn_target "amdgcn-amd-amdhsa--gfx906"
	.amdhsa_code_object_version 6
	.protected	fft_rtc_fwd_len102_factors_17_6_wgs_119_tpt_17_halfLds_dp_ip_CI_unitstride_sbrr_C2R_dirReg ; -- Begin function fft_rtc_fwd_len102_factors_17_6_wgs_119_tpt_17_halfLds_dp_ip_CI_unitstride_sbrr_C2R_dirReg
	.globl	fft_rtc_fwd_len102_factors_17_6_wgs_119_tpt_17_halfLds_dp_ip_CI_unitstride_sbrr_C2R_dirReg
	.p2align	8
	.type	fft_rtc_fwd_len102_factors_17_6_wgs_119_tpt_17_halfLds_dp_ip_CI_unitstride_sbrr_C2R_dirReg,@function
fft_rtc_fwd_len102_factors_17_6_wgs_119_tpt_17_halfLds_dp_ip_CI_unitstride_sbrr_C2R_dirReg: ; @fft_rtc_fwd_len102_factors_17_6_wgs_119_tpt_17_halfLds_dp_ip_CI_unitstride_sbrr_C2R_dirReg
; %bb.0:
	s_load_dwordx2 s[2:3], s[4:5], 0x50
	s_load_dwordx4 s[8:11], s[4:5], 0x0
	s_load_dwordx2 s[12:13], s[4:5], 0x18
	v_mul_u32_u24_e32 v1, 0xf10, v0
	v_lshrrev_b32_e32 v1, 16, v1
	v_mad_u64_u32 v[1:2], s[0:1], s6, 7, v[1:2]
	v_mov_b32_e32 v5, 0
	s_waitcnt lgkmcnt(0)
	v_cmp_lt_u64_e64 s[0:1], s[10:11], 2
	v_mov_b32_e32 v2, v5
	v_mov_b32_e32 v3, 0
	;; [unrolled: 1-line block ×3, first 2 shown]
	s_and_b64 vcc, exec, s[0:1]
	v_mov_b32_e32 v4, 0
	v_mov_b32_e32 v9, v1
	s_cbranch_vccnz .LBB0_8
; %bb.1:
	s_load_dwordx2 s[0:1], s[4:5], 0x10
	s_add_u32 s6, s12, 8
	s_addc_u32 s7, s13, 0
	v_mov_b32_e32 v3, 0
	v_mov_b32_e32 v8, v2
	s_waitcnt lgkmcnt(0)
	s_add_u32 s16, s0, 8
	s_mov_b64 s[14:15], 1
	v_mov_b32_e32 v4, 0
	s_addc_u32 s17, s1, 0
	v_mov_b32_e32 v7, v1
.LBB0_2:                                ; =>This Inner Loop Header: Depth=1
	s_load_dwordx2 s[18:19], s[16:17], 0x0
                                        ; implicit-def: $vgpr9_vgpr10
	s_waitcnt lgkmcnt(0)
	v_or_b32_e32 v6, s19, v8
	v_cmp_ne_u64_e32 vcc, 0, v[5:6]
	s_and_saveexec_b64 s[0:1], vcc
	s_xor_b64 s[20:21], exec, s[0:1]
	s_cbranch_execz .LBB0_4
; %bb.3:                                ;   in Loop: Header=BB0_2 Depth=1
	v_cvt_f32_u32_e32 v2, s18
	v_cvt_f32_u32_e32 v6, s19
	s_sub_u32 s0, 0, s18
	s_subb_u32 s1, 0, s19
	v_mac_f32_e32 v2, 0x4f800000, v6
	v_rcp_f32_e32 v2, v2
	v_mul_f32_e32 v2, 0x5f7ffffc, v2
	v_mul_f32_e32 v6, 0x2f800000, v2
	v_trunc_f32_e32 v6, v6
	v_mac_f32_e32 v2, 0xcf800000, v6
	v_cvt_u32_f32_e32 v6, v6
	v_cvt_u32_f32_e32 v2, v2
	v_mul_lo_u32 v9, s0, v6
	v_mul_hi_u32 v10, s0, v2
	v_mul_lo_u32 v12, s1, v2
	v_mul_lo_u32 v11, s0, v2
	v_add_u32_e32 v9, v10, v9
	v_add_u32_e32 v9, v9, v12
	v_mul_hi_u32 v10, v2, v11
	v_mul_lo_u32 v12, v2, v9
	v_mul_hi_u32 v14, v2, v9
	v_mul_hi_u32 v13, v6, v11
	v_mul_lo_u32 v11, v6, v11
	v_mul_hi_u32 v15, v6, v9
	v_add_co_u32_e32 v10, vcc, v10, v12
	v_addc_co_u32_e32 v12, vcc, 0, v14, vcc
	v_mul_lo_u32 v9, v6, v9
	v_add_co_u32_e32 v10, vcc, v10, v11
	v_addc_co_u32_e32 v10, vcc, v12, v13, vcc
	v_addc_co_u32_e32 v11, vcc, 0, v15, vcc
	v_add_co_u32_e32 v9, vcc, v10, v9
	v_addc_co_u32_e32 v10, vcc, 0, v11, vcc
	v_add_co_u32_e32 v2, vcc, v2, v9
	v_addc_co_u32_e32 v6, vcc, v6, v10, vcc
	v_mul_lo_u32 v9, s0, v6
	v_mul_hi_u32 v10, s0, v2
	v_mul_lo_u32 v11, s1, v2
	v_mul_lo_u32 v12, s0, v2
	v_add_u32_e32 v9, v10, v9
	v_add_u32_e32 v9, v9, v11
	v_mul_lo_u32 v13, v2, v9
	v_mul_hi_u32 v14, v2, v12
	v_mul_hi_u32 v15, v2, v9
	;; [unrolled: 1-line block ×3, first 2 shown]
	v_mul_lo_u32 v12, v6, v12
	v_mul_hi_u32 v10, v6, v9
	v_add_co_u32_e32 v13, vcc, v14, v13
	v_addc_co_u32_e32 v14, vcc, 0, v15, vcc
	v_mul_lo_u32 v9, v6, v9
	v_add_co_u32_e32 v12, vcc, v13, v12
	v_addc_co_u32_e32 v11, vcc, v14, v11, vcc
	v_addc_co_u32_e32 v10, vcc, 0, v10, vcc
	v_add_co_u32_e32 v9, vcc, v11, v9
	v_addc_co_u32_e32 v10, vcc, 0, v10, vcc
	v_add_co_u32_e32 v2, vcc, v2, v9
	v_addc_co_u32_e32 v6, vcc, v6, v10, vcc
	v_mad_u64_u32 v[9:10], s[0:1], v7, v6, 0
	v_mul_hi_u32 v11, v7, v2
	v_add_co_u32_e32 v13, vcc, v11, v9
	v_addc_co_u32_e32 v14, vcc, 0, v10, vcc
	v_mad_u64_u32 v[9:10], s[0:1], v8, v2, 0
	v_mad_u64_u32 v[11:12], s[0:1], v8, v6, 0
	v_add_co_u32_e32 v2, vcc, v13, v9
	v_addc_co_u32_e32 v2, vcc, v14, v10, vcc
	v_addc_co_u32_e32 v6, vcc, 0, v12, vcc
	v_add_co_u32_e32 v2, vcc, v2, v11
	v_addc_co_u32_e32 v6, vcc, 0, v6, vcc
	v_mul_lo_u32 v11, s19, v2
	v_mul_lo_u32 v12, s18, v6
	v_mad_u64_u32 v[9:10], s[0:1], s18, v2, 0
	v_add3_u32 v10, v10, v12, v11
	v_sub_u32_e32 v11, v8, v10
	v_mov_b32_e32 v12, s19
	v_sub_co_u32_e32 v9, vcc, v7, v9
	v_subb_co_u32_e64 v11, s[0:1], v11, v12, vcc
	v_subrev_co_u32_e64 v12, s[0:1], s18, v9
	v_subbrev_co_u32_e64 v11, s[0:1], 0, v11, s[0:1]
	v_cmp_le_u32_e64 s[0:1], s19, v11
	v_cndmask_b32_e64 v13, 0, -1, s[0:1]
	v_cmp_le_u32_e64 s[0:1], s18, v12
	v_cndmask_b32_e64 v12, 0, -1, s[0:1]
	v_cmp_eq_u32_e64 s[0:1], s19, v11
	v_cndmask_b32_e64 v11, v13, v12, s[0:1]
	v_add_co_u32_e64 v12, s[0:1], 2, v2
	v_addc_co_u32_e64 v13, s[0:1], 0, v6, s[0:1]
	v_add_co_u32_e64 v14, s[0:1], 1, v2
	v_addc_co_u32_e64 v15, s[0:1], 0, v6, s[0:1]
	v_subb_co_u32_e32 v10, vcc, v8, v10, vcc
	v_cmp_ne_u32_e64 s[0:1], 0, v11
	v_cmp_le_u32_e32 vcc, s19, v10
	v_cndmask_b32_e64 v11, v15, v13, s[0:1]
	v_cndmask_b32_e64 v13, 0, -1, vcc
	v_cmp_le_u32_e32 vcc, s18, v9
	v_cndmask_b32_e64 v9, 0, -1, vcc
	v_cmp_eq_u32_e32 vcc, s19, v10
	v_cndmask_b32_e32 v9, v13, v9, vcc
	v_cmp_ne_u32_e32 vcc, 0, v9
	v_cndmask_b32_e32 v10, v6, v11, vcc
	v_cndmask_b32_e64 v6, v14, v12, s[0:1]
	v_cndmask_b32_e32 v9, v2, v6, vcc
.LBB0_4:                                ;   in Loop: Header=BB0_2 Depth=1
	s_andn2_saveexec_b64 s[0:1], s[20:21]
	s_cbranch_execz .LBB0_6
; %bb.5:                                ;   in Loop: Header=BB0_2 Depth=1
	v_cvt_f32_u32_e32 v2, s18
	s_sub_i32 s20, 0, s18
	v_rcp_iflag_f32_e32 v2, v2
	v_mul_f32_e32 v2, 0x4f7ffffe, v2
	v_cvt_u32_f32_e32 v2, v2
	v_mul_lo_u32 v6, s20, v2
	v_mul_hi_u32 v6, v2, v6
	v_add_u32_e32 v2, v2, v6
	v_mul_hi_u32 v2, v7, v2
	v_mul_lo_u32 v6, v2, s18
	v_add_u32_e32 v9, 1, v2
	v_sub_u32_e32 v6, v7, v6
	v_subrev_u32_e32 v10, s18, v6
	v_cmp_le_u32_e32 vcc, s18, v6
	v_cndmask_b32_e32 v6, v6, v10, vcc
	v_cndmask_b32_e32 v2, v2, v9, vcc
	v_add_u32_e32 v9, 1, v2
	v_cmp_le_u32_e32 vcc, s18, v6
	v_cndmask_b32_e32 v9, v2, v9, vcc
	v_mov_b32_e32 v10, v5
.LBB0_6:                                ;   in Loop: Header=BB0_2 Depth=1
	s_or_b64 exec, exec, s[0:1]
	v_mul_lo_u32 v2, v10, s18
	v_mul_lo_u32 v6, v9, s19
	v_mad_u64_u32 v[11:12], s[0:1], v9, s18, 0
	s_load_dwordx2 s[0:1], s[6:7], 0x0
	s_add_u32 s14, s14, 1
	v_add3_u32 v2, v12, v6, v2
	v_sub_co_u32_e32 v6, vcc, v7, v11
	v_subb_co_u32_e32 v2, vcc, v8, v2, vcc
	s_waitcnt lgkmcnt(0)
	v_mul_lo_u32 v2, s0, v2
	v_mul_lo_u32 v7, s1, v6
	v_mad_u64_u32 v[3:4], s[0:1], s0, v6, v[3:4]
	s_addc_u32 s15, s15, 0
	s_add_u32 s6, s6, 8
	v_add3_u32 v4, v7, v4, v2
	v_mov_b32_e32 v6, s10
	v_mov_b32_e32 v7, s11
	s_addc_u32 s7, s7, 0
	v_cmp_ge_u64_e32 vcc, s[14:15], v[6:7]
	s_add_u32 s16, s16, 8
	s_addc_u32 s17, s17, 0
	s_cbranch_vccnz .LBB0_8
; %bb.7:                                ;   in Loop: Header=BB0_2 Depth=1
	v_mov_b32_e32 v7, v9
	v_mov_b32_e32 v8, v10
	s_branch .LBB0_2
.LBB0_8:
	s_lshl_b64 s[0:1], s[10:11], 3
	s_add_u32 s0, s12, s0
	s_addc_u32 s1, s13, s1
	s_load_dwordx2 s[6:7], s[0:1], 0x0
	s_load_dwordx2 s[10:11], s[4:5], 0x20
	s_mov_b32 s0, 0x24924925
	v_mul_hi_u32 v2, v1, s0
	s_waitcnt lgkmcnt(0)
	v_mul_lo_u32 v5, s6, v10
	v_mul_lo_u32 v6, s7, v9
	v_sub_u32_e32 v7, v1, v2
	v_mad_u64_u32 v[3:4], s[0:1], s6, v9, v[3:4]
	v_lshrrev_b32_e32 v7, 1, v7
	v_add_u32_e32 v2, v7, v2
	v_lshrrev_b32_e32 v2, 2, v2
	v_mul_lo_u32 v2, v2, 7
	s_mov_b32 s0, 0xf0f0f10
	v_add3_u32 v4, v6, v4, v5
	v_mul_hi_u32 v5, v0, s0
	v_sub_u32_e32 v1, v1, v2
	v_mul_u32_u24_e32 v2, 0x67, v1
	v_cmp_gt_u64_e32 vcc, s[10:11], v[9:10]
	v_mul_u32_u24_e32 v1, 17, v5
	v_lshlrev_b64 v[70:71], 4, v[3:4]
	v_sub_u32_e32 v68, v0, v1
	v_lshlrev_b32_e32 v118, 4, v2
	s_and_saveexec_b64 s[4:5], vcc
	s_cbranch_execz .LBB0_12
; %bb.9:
	v_mov_b32_e32 v69, 0
	v_mov_b32_e32 v1, s3
	v_add_co_u32_e64 v0, s[0:1], s2, v70
	v_lshlrev_b64 v[3:4], 4, v[68:69]
	v_addc_co_u32_e64 v1, s[0:1], v1, v71, s[0:1]
	v_add_co_u32_e64 v28, s[0:1], v0, v3
	v_addc_co_u32_e64 v29, s[0:1], v1, v4, s[0:1]
	global_load_dwordx4 v[4:7], v[28:29], off
	global_load_dwordx4 v[8:11], v[28:29], off offset:272
	global_load_dwordx4 v[12:15], v[28:29], off offset:544
	;; [unrolled: 1-line block ×5, first 2 shown]
	v_lshlrev_b32_e32 v3, 4, v68
	v_add3_u32 v3, 0, v118, v3
	v_cmp_eq_u32_e64 s[0:1], 16, v68
	s_waitcnt vmcnt(5)
	ds_write_b128 v3, v[4:7]
	s_waitcnt vmcnt(4)
	ds_write_b128 v3, v[8:11] offset:272
	s_waitcnt vmcnt(3)
	ds_write_b128 v3, v[12:15] offset:544
	;; [unrolled: 2-line block ×5, first 2 shown]
	s_and_saveexec_b64 s[6:7], s[0:1]
	s_cbranch_execz .LBB0_11
; %bb.10:
	global_load_dwordx4 v[4:7], v[0:1], off offset:1632
	v_mov_b32_e32 v68, 16
	s_waitcnt vmcnt(0)
	ds_write_b128 v3, v[4:7] offset:1376
.LBB0_11:
	s_or_b64 exec, exec, s[6:7]
.LBB0_12:
	s_or_b64 exec, exec, s[4:5]
	v_lshl_add_u32 v116, v2, 4, 0
	v_lshlrev_b32_e32 v10, 4, v68
	v_add_u32_e32 v117, v116, v10
	s_waitcnt lgkmcnt(0)
	s_barrier
	v_sub_u32_e32 v11, v116, v10
	ds_read_b64 v[6:7], v117
	ds_read_b64 v[8:9], v11 offset:1632
	v_cmp_ne_u32_e64 s[0:1], 0, v68
                                        ; implicit-def: $vgpr4_vgpr5
	s_waitcnt lgkmcnt(0)
	v_add_f64 v[0:1], v[6:7], v[8:9]
	v_add_f64 v[2:3], v[6:7], -v[8:9]
	s_and_saveexec_b64 s[4:5], s[0:1]
	s_xor_b64 s[4:5], exec, s[4:5]
	s_cbranch_execz .LBB0_14
; %bb.13:
	v_mov_b32_e32 v69, 0
	v_lshlrev_b64 v[0:1], 4, v[68:69]
	v_mov_b32_e32 v2, s9
	v_add_co_u32_e64 v0, s[0:1], s8, v0
	v_addc_co_u32_e64 v1, s[0:1], v2, v1, s[0:1]
	global_load_dwordx4 v[2:5], v[0:1], off offset:1360
	ds_read_b64 v[0:1], v11 offset:1640
	ds_read_b64 v[12:13], v117 offset:8
	v_add_f64 v[14:15], v[6:7], v[8:9]
	v_add_f64 v[8:9], v[6:7], -v[8:9]
	s_waitcnt lgkmcnt(0)
	v_add_f64 v[16:17], v[0:1], v[12:13]
	v_add_f64 v[0:1], v[12:13], -v[0:1]
	s_waitcnt vmcnt(0)
	v_fma_f64 v[6:7], -v[8:9], v[4:5], v[14:15]
	v_fma_f64 v[12:13], v[16:17], v[4:5], -v[0:1]
	v_fma_f64 v[14:15], v[8:9], v[4:5], v[14:15]
	v_fma_f64 v[18:19], v[16:17], v[4:5], v[0:1]
	;; [unrolled: 1-line block ×4, first 2 shown]
	v_fma_f64 v[0:1], -v[16:17], v[2:3], v[14:15]
	v_fma_f64 v[2:3], v[8:9], v[2:3], v[18:19]
	ds_write_b128 v11, v[4:7] offset:1632
	v_mov_b32_e32 v4, v68
	v_mov_b32_e32 v5, v69
.LBB0_14:
	s_andn2_saveexec_b64 s[0:1], s[4:5]
	s_cbranch_execz .LBB0_16
; %bb.15:
	ds_read_b128 v[4:7], v116 offset:816
	s_waitcnt lgkmcnt(0)
	v_add_f64 v[12:13], v[4:5], v[4:5]
	v_mul_f64 v[14:15], v[6:7], -2.0
	v_mov_b32_e32 v4, 0
	v_mov_b32_e32 v5, 0
	ds_write_b128 v116, v[12:15] offset:816
.LBB0_16:
	s_or_b64 exec, exec, s[0:1]
	s_add_u32 s0, s8, 0x550
	v_lshlrev_b64 v[4:5], 4, v[4:5]
	s_addc_u32 s1, s9, 0
	v_mov_b32_e32 v6, s1
	v_add_co_u32_e64 v8, s[0:1], s0, v4
	v_addc_co_u32_e64 v9, s[0:1], v6, v5, s[0:1]
	global_load_dwordx4 v[4:7], v[8:9], off offset:272
	global_load_dwordx4 v[12:15], v[8:9], off offset:544
	ds_write_b128 v117, v[0:3]
	ds_read_b128 v[0:3], v117 offset:272
	ds_read_b128 v[16:19], v11 offset:1360
	v_add3_u32 v69, 0, v10, v118
	v_cmp_gt_u32_e64 s[0:1], 6, v68
	s_waitcnt lgkmcnt(0)
	v_add_f64 v[8:9], v[0:1], v[16:17]
	v_add_f64 v[20:21], v[18:19], v[2:3]
	v_add_f64 v[16:17], v[0:1], -v[16:17]
	v_add_f64 v[0:1], v[2:3], -v[18:19]
	s_waitcnt vmcnt(1)
	v_fma_f64 v[2:3], v[16:17], v[6:7], v[8:9]
	v_fma_f64 v[18:19], v[20:21], v[6:7], v[0:1]
	v_fma_f64 v[8:9], -v[16:17], v[6:7], v[8:9]
	v_fma_f64 v[22:23], v[20:21], v[6:7], -v[0:1]
	v_fma_f64 v[0:1], -v[20:21], v[4:5], v[2:3]
	v_fma_f64 v[2:3], v[16:17], v[4:5], v[18:19]
	v_fma_f64 v[6:7], v[20:21], v[4:5], v[8:9]
	;; [unrolled: 1-line block ×3, first 2 shown]
	ds_write_b128 v117, v[0:3] offset:272
	ds_write_b128 v11, v[6:9] offset:1360
	ds_read_b128 v[0:3], v117 offset:544
	ds_read_b128 v[4:7], v11 offset:1088
	s_waitcnt lgkmcnt(0)
	v_add_f64 v[8:9], v[0:1], v[4:5]
	v_add_f64 v[16:17], v[6:7], v[2:3]
	v_add_f64 v[18:19], v[0:1], -v[4:5]
	v_add_f64 v[0:1], v[2:3], -v[6:7]
	s_waitcnt vmcnt(0)
	v_fma_f64 v[2:3], v[18:19], v[14:15], v[8:9]
	v_fma_f64 v[4:5], v[16:17], v[14:15], v[0:1]
	v_fma_f64 v[6:7], -v[18:19], v[14:15], v[8:9]
	v_fma_f64 v[8:9], v[16:17], v[14:15], -v[0:1]
	v_fma_f64 v[0:1], -v[16:17], v[12:13], v[2:3]
	v_fma_f64 v[2:3], v[18:19], v[12:13], v[4:5]
	v_fma_f64 v[4:5], v[16:17], v[12:13], v[6:7]
	v_fma_f64 v[6:7], v[18:19], v[12:13], v[8:9]
	ds_write_b128 v117, v[0:3] offset:544
	ds_write_b128 v11, v[4:7] offset:1088
	s_waitcnt lgkmcnt(0)
	s_barrier
	s_barrier
	ds_read_b128 v[0:3], v117
	ds_read_b128 v[40:43], v69 offset:96
	ds_read_b128 v[48:51], v69 offset:192
	;; [unrolled: 1-line block ×16, first 2 shown]
	s_waitcnt lgkmcnt(0)
	s_barrier
	s_and_saveexec_b64 s[4:5], s[0:1]
	s_cbranch_execz .LBB0_18
; %bb.17:
	v_add_f64 v[76:77], v[2:3], v[42:43]
	v_add_f64 v[78:79], v[0:1], v[40:41]
	;; [unrolled: 1-line block ×3, first 2 shown]
	v_add_f64 v[86:87], v[52:53], -v[24:25]
	v_add_f64 v[100:101], v[54:55], -v[26:27]
	s_mov_b32 s0, 0x7faef3
	s_mov_b32 s1, 0xbfef7484
	v_add_f64 v[80:81], v[38:39], v[34:35]
	v_add_f64 v[84:85], v[76:77], v[50:51]
	;; [unrolled: 1-line block ×3, first 2 shown]
	v_add_f64 v[74:75], v[36:37], -v[32:33]
	v_add_f64 v[72:73], v[36:37], v[32:33]
	v_add_f64 v[82:83], v[38:39], -v[34:35]
	v_add_f64 v[78:79], v[44:45], -v[28:29]
	v_add_f64 v[76:77], v[44:45], v[28:29]
	v_add_f64 v[104:105], v[62:63], v[22:23]
	;; [unrolled: 1-line block ×5, first 2 shown]
	v_add_f64 v[102:103], v[62:63], -v[22:23]
	s_mov_b32 s10, 0xacd6c6b4
	s_mov_b32 s6, 0x370991
	;; [unrolled: 1-line block ×4, first 2 shown]
	v_add_f64 v[112:113], v[92:93], v[66:67]
	v_add_f64 v[114:115], v[106:107], v[64:65]
	v_add_f64 v[90:91], v[60:61], -v[20:21]
	v_add_f64 v[88:89], v[60:61], v[20:21]
	v_add_f64 v[110:111], v[58:59], v[14:15]
	s_mov_b32 s12, 0x5d8e7cdc
	s_mov_b32 s14, 0x910ea3b9
	;; [unrolled: 1-line block ×3, first 2 shown]
	v_add_f64 v[112:113], v[112:113], v[62:63]
	v_add_f64 v[114:115], v[114:115], v[60:61]
	v_add_f64 v[62:63], v[50:51], v[10:11]
	v_add_f64 v[60:61], v[58:59], -v[14:15]
	v_add_f64 v[58:59], v[48:49], -v[8:9]
	s_mov_b32 s15, 0xbfeb34fa
	v_add_f64 v[96:97], v[46:47], v[30:31]
	v_add_f64 v[94:95], v[46:47], -v[30:31]
	v_add_f64 v[119:120], v[112:113], v[54:55]
	v_add_f64 v[121:122], v[114:115], v[52:53]
	;; [unrolled: 1-line block ×3, first 2 shown]
	v_add_f64 v[54:55], v[40:41], -v[4:5]
	v_add_f64 v[52:53], v[40:41], v[4:5]
	v_add_f64 v[112:113], v[42:43], -v[6:7]
	v_add_f64 v[108:109], v[66:67], v[18:19]
	;; [unrolled: 2-line block ×3, first 2 shown]
	v_add_f64 v[42:43], v[121:122], v[44:45]
	v_mul_f64 v[44:45], v[114:115], s[0:1]
	v_add_f64 v[66:67], v[56:57], -v[12:13]
	s_mov_b32 s16, 0x4363dd80
	s_mov_b32 s24, 0x75d4884
	;; [unrolled: 1-line block ×4, first 2 shown]
	v_add_f64 v[38:39], v[40:41], v[38:39]
	v_add_f64 v[36:37], v[42:43], v[36:37]
	v_mul_f64 v[40:41], v[62:63], s[6:7]
	v_fma_f64 v[42:43], v[54:55], s[10:11], v[44:45]
	s_mov_b32 s23, 0xbfc7851a
	s_mov_b32 s22, s10
	v_add_f64 v[92:93], v[64:65], -v[16:17]
	v_add_f64 v[50:51], v[50:51], -v[10:11]
	v_add_f64 v[34:35], v[38:39], v[34:35]
	v_add_f64 v[32:33], v[36:37], v[32:33]
	v_mul_f64 v[36:37], v[110:111], s[14:15]
	v_fma_f64 v[38:39], v[58:59], s[12:13], v[40:41]
	v_add_f64 v[42:43], v[2:3], v[42:43]
	s_mov_b32 s42, 0x2a9d6da3
	s_mov_b32 s18, 0x6ed5f1bb
	;; [unrolled: 1-line block ×3, first 2 shown]
	v_add_f64 v[30:31], v[34:35], v[30:31]
	v_add_f64 v[28:29], v[32:33], v[28:29]
	v_mul_f64 v[32:33], v[108:109], s[24:25]
	v_fma_f64 v[34:35], v[66:67], s[16:17], v[36:37]
	s_mov_b32 s19, 0xbfe348c8
	s_mov_b32 s29, 0x3fd71e95
	;; [unrolled: 1-line block ×3, first 2 shown]
	v_add_f64 v[48:49], v[48:49], v[8:9]
	v_add_f64 v[26:27], v[30:31], v[26:27]
	;; [unrolled: 1-line block ×4, first 2 shown]
	v_mul_f64 v[38:39], v[112:113], s[22:23]
	v_mul_f64 v[30:31], v[104:105], s[18:19]
	v_fma_f64 v[42:43], v[92:93], s[42:43], v[32:33]
	s_mov_b32 s20, 0x6c9a05f6
	s_mov_b32 s21, 0x3fe9895b
	v_add_f64 v[22:23], v[26:27], v[22:23]
	v_add_f64 v[20:21], v[24:25], v[20:21]
	;; [unrolled: 1-line block ×3, first 2 shown]
	v_mul_f64 v[26:27], v[50:51], s[28:29]
	v_fma_f64 v[28:29], v[52:53], s[0:1], v[38:39]
	s_mov_b32 s37, 0xbfe0d888
	s_mov_b32 s36, s16
	v_add_f64 v[64:65], v[64:65], v[16:17]
	v_add_f64 v[56:57], v[56:57], v[12:13]
	v_fma_f64 v[34:35], v[90:91], s[20:21], v[30:31]
	v_add_f64 v[18:19], v[22:23], v[18:19]
	v_add_f64 v[16:17], v[20:21], v[16:17]
	;; [unrolled: 1-line block ×3, first 2 shown]
	v_fma_f64 v[22:23], v[48:49], s[6:7], v[26:27]
	v_add_f64 v[24:25], v[0:1], v[28:29]
	v_mul_f64 v[28:29], v[60:61], s[36:37]
	s_mov_b32 s26, 0x2b2883cd
	s_mov_b32 s27, 0x3fdc86fa
	;; [unrolled: 1-line block ×4, first 2 shown]
	v_add_f64 v[14:15], v[18:19], v[14:15]
	v_add_f64 v[12:13], v[16:17], v[12:13]
	;; [unrolled: 1-line block ×3, first 2 shown]
	v_mul_f64 v[18:19], v[98:99], s[26:27]
	v_add_f64 v[20:21], v[22:23], v[24:25]
	v_fma_f64 v[22:23], v[56:57], s[14:15], v[28:29]
	v_mul_f64 v[24:25], v[106:107], s[40:41]
	s_mov_b32 s30, 0x7c9e640b
	s_mov_b32 s34, 0xc61f0d01
	;; [unrolled: 1-line block ×6, first 2 shown]
	v_fma_f64 v[34:35], v[86:87], s[30:31], v[18:19]
	v_mul_f64 v[42:43], v[96:97], s[34:35]
	v_add_f64 v[20:21], v[22:23], v[20:21]
	v_fma_f64 v[22:23], v[64:65], s[24:25], v[24:25]
	v_mul_f64 v[46:47], v[102:103], s[46:47]
	s_mov_b32 s38, 0x923c349f
	s_mov_b32 s39, 0x3feec746
	v_add_f64 v[10:11], v[14:15], v[10:11]
	v_add_f64 v[14:15], v[34:35], v[16:17]
	v_fma_f64 v[16:17], v[78:79], s[38:39], v[42:43]
	s_mov_b32 s49, 0x3feca52d
	v_add_f64 v[20:21], v[22:23], v[20:21]
	v_fma_f64 v[22:23], v[54:55], s[22:23], v[44:45]
	v_fma_f64 v[34:35], v[88:89], s[18:19], v[46:47]
	s_mov_b32 s48, s30
	v_mul_f64 v[44:45], v[100:101], s[48:49]
	v_add_f64 v[8:9], v[12:13], v[8:9]
	v_add_f64 v[6:7], v[10:11], v[6:7]
	v_fma_f64 v[10:11], v[58:59], s[28:29], v[40:41]
	v_add_f64 v[14:15], v[16:17], v[14:15]
	v_add_f64 v[12:13], v[2:3], v[22:23]
	;; [unrolled: 1-line block ×3, first 2 shown]
	v_fma_f64 v[20:21], v[52:53], s[0:1], -v[38:39]
	v_fma_f64 v[22:23], v[84:85], s[26:27], v[44:45]
	v_fma_f64 v[26:27], v[48:49], s[6:7], -v[26:27]
	s_mov_b32 s50, 0x3259b75e
	s_mov_b32 s51, 0x3fb79ee6
	;; [unrolled: 1-line block ×3, first 2 shown]
	v_add_f64 v[10:11], v[10:11], v[12:13]
	v_fma_f64 v[12:13], v[66:67], s[36:37], v[36:37]
	v_add_f64 v[20:21], v[0:1], v[20:21]
	v_add_f64 v[16:17], v[22:23], v[16:17]
	v_mul_f64 v[22:23], v[80:81], s[50:51]
	s_mov_b32 s45, 0xbfeec746
	s_mov_b32 s44, s38
	s_mov_b32 s55, 0xbfefdd0d
	v_mul_f64 v[34:35], v[94:95], s[44:45]
	v_add_f64 v[10:11], v[12:13], v[10:11]
	v_fma_f64 v[12:13], v[92:93], s[40:41], v[32:33]
	v_add_f64 v[20:21], v[26:27], v[20:21]
	v_fma_f64 v[26:27], v[56:57], s[14:15], -v[28:29]
	v_fma_f64 v[28:29], v[74:75], s[54:55], v[22:23]
	v_mul_f64 v[32:33], v[114:115], s[14:15]
	v_add_f64 v[4:5], v[8:9], v[4:5]
	v_fma_f64 v[24:25], v[64:65], s[24:25], -v[24:25]
	v_fma_f64 v[36:37], v[76:77], s[34:35], v[34:35]
	v_add_f64 v[8:9], v[12:13], v[10:11]
	v_fma_f64 v[12:13], v[90:91], s[46:47], v[30:31]
	v_add_f64 v[20:21], v[26:27], v[20:21]
	v_add_f64 v[10:11], v[28:29], v[14:15]
	v_fma_f64 v[14:15], v[54:55], s[16:17], v[32:33]
	v_mul_f64 v[26:27], v[62:63], s[26:27]
	v_mul_f64 v[28:29], v[110:111], s[50:51]
	v_add_f64 v[16:17], v[36:37], v[16:17]
	v_mul_f64 v[36:37], v[112:113], s[36:37]
	v_add_f64 v[8:9], v[12:13], v[8:9]
	v_fma_f64 v[12:13], v[86:87], s[48:49], v[18:19]
	v_add_f64 v[18:19], v[24:25], v[20:21]
	v_fma_f64 v[20:21], v[88:89], s[18:19], -v[46:47]
	v_add_f64 v[14:15], v[2:3], v[14:15]
	v_fma_f64 v[24:25], v[58:59], s[30:31], v[26:27]
	s_mov_b32 s53, 0x3fefdd0d
	s_mov_b32 s52, s54
	v_mul_f64 v[30:31], v[82:83], s[52:53]
	v_add_f64 v[8:9], v[12:13], v[8:9]
	v_mul_f64 v[38:39], v[108:109], s[18:19]
	v_add_f64 v[12:13], v[20:21], v[18:19]
	v_fma_f64 v[18:19], v[84:85], s[26:27], -v[44:45]
	v_fma_f64 v[20:21], v[78:79], s[44:45], v[42:43]
	v_add_f64 v[14:15], v[24:25], v[14:15]
	v_fma_f64 v[24:25], v[66:67], s[52:53], v[28:29]
	v_fma_f64 v[42:43], v[52:53], s[14:15], v[36:37]
	v_mul_f64 v[44:45], v[50:51], s[48:49]
	v_fma_f64 v[40:41], v[72:73], s[50:51], v[30:31]
	v_mul_f64 v[119:120], v[60:61], s[54:55]
	v_add_f64 v[12:13], v[18:19], v[12:13]
	v_fma_f64 v[18:19], v[76:77], s[34:35], -v[34:35]
	v_add_f64 v[20:21], v[20:21], v[8:9]
	v_add_f64 v[14:15], v[24:25], v[14:15]
	v_fma_f64 v[24:25], v[92:93], s[46:47], v[38:39]
	v_mul_f64 v[34:35], v[104:105], s[6:7]
	v_add_f64 v[42:43], v[0:1], v[42:43]
	v_fma_f64 v[46:47], v[48:49], s[26:27], v[44:45]
	v_add_f64 v[8:9], v[40:41], v[16:17]
	v_add_f64 v[12:13], v[18:19], v[12:13]
	v_fma_f64 v[18:19], v[74:75], s[52:53], v[22:23]
	v_fma_f64 v[22:23], v[72:73], s[50:51], -v[30:31]
	v_add_f64 v[16:17], v[24:25], v[14:15]
	v_fma_f64 v[24:25], v[90:91], s[28:29], v[34:35]
	v_fma_f64 v[40:41], v[56:57], s[50:51], v[119:120]
	v_add_f64 v[30:31], v[46:47], v[42:43]
	v_mul_f64 v[42:43], v[106:107], s[20:21]
	v_fma_f64 v[26:27], v[58:59], s[48:49], v[26:27]
	v_add_f64 v[14:15], v[18:19], v[20:21]
	v_add_f64 v[12:13], v[22:23], v[12:13]
	v_fma_f64 v[18:19], v[54:55], s[36:37], v[32:33]
	v_fma_f64 v[22:23], v[52:53], s[14:15], -v[36:37]
	v_mul_f64 v[20:21], v[98:99], s[0:1]
	v_add_f64 v[16:17], v[24:25], v[16:17]
	v_add_f64 v[24:25], v[40:41], v[30:31]
	v_fma_f64 v[30:31], v[64:65], s[18:19], v[42:43]
	v_mul_f64 v[32:33], v[102:103], s[12:13]
	v_fma_f64 v[40:41], v[48:49], s[26:27], -v[44:45]
	v_add_f64 v[18:19], v[2:3], v[18:19]
	v_add_f64 v[22:23], v[0:1], v[22:23]
	v_fma_f64 v[36:37], v[86:87], s[10:11], v[20:21]
	v_mul_f64 v[44:45], v[96:97], s[24:25]
	v_mul_f64 v[46:47], v[100:101], s[22:23]
	v_add_f64 v[24:25], v[30:31], v[24:25]
	v_fma_f64 v[30:31], v[88:89], s[6:7], v[32:33]
	v_mul_f64 v[121:122], v[80:81], s[34:35]
	v_add_f64 v[18:19], v[26:27], v[18:19]
	v_fma_f64 v[26:27], v[66:67], s[54:55], v[28:29]
	v_add_f64 v[22:23], v[40:41], v[22:23]
	v_fma_f64 v[28:29], v[56:57], s[50:51], -v[119:120]
	v_add_f64 v[16:17], v[36:37], v[16:17]
	v_fma_f64 v[36:37], v[78:79], s[42:43], v[44:45]
	v_add_f64 v[24:25], v[30:31], v[24:25]
	v_mul_f64 v[30:31], v[114:115], s[18:19]
	v_fma_f64 v[40:41], v[84:85], s[0:1], v[46:47]
	v_add_f64 v[18:19], v[26:27], v[18:19]
	v_fma_f64 v[26:27], v[92:93], s[20:21], v[38:39]
	v_add_f64 v[22:23], v[28:29], v[22:23]
	v_fma_f64 v[28:29], v[64:65], s[18:19], -v[42:43]
	v_mul_f64 v[38:39], v[94:95], s[40:41]
	v_add_f64 v[16:17], v[36:37], v[16:17]
	v_fma_f64 v[36:37], v[54:55], s[20:21], v[30:31]
	v_mul_f64 v[42:43], v[62:63], s[34:35]
	v_add_f64 v[24:25], v[40:41], v[24:25]
	v_mul_f64 v[40:41], v[112:113], s[46:47]
	v_add_f64 v[18:19], v[26:27], v[18:19]
	v_add_f64 v[22:23], v[28:29], v[22:23]
	v_fma_f64 v[28:29], v[88:89], s[6:7], -v[32:33]
	v_fma_f64 v[26:27], v[90:91], s[12:13], v[34:35]
	v_fma_f64 v[34:35], v[76:77], s[24:25], v[38:39]
	v_add_f64 v[32:33], v[2:3], v[36:37]
	v_fma_f64 v[36:37], v[58:59], s[44:45], v[42:43]
	v_mul_f64 v[119:120], v[110:111], s[6:7]
	v_mul_f64 v[123:124], v[50:51], s[38:39]
	v_fma_f64 v[20:21], v[86:87], s[22:23], v[20:21]
	v_add_f64 v[22:23], v[28:29], v[22:23]
	v_fma_f64 v[28:29], v[84:85], s[0:1], -v[46:47]
	v_fma_f64 v[46:47], v[52:53], s[18:19], v[40:41]
	v_add_f64 v[18:19], v[26:27], v[18:19]
	v_mul_f64 v[26:27], v[82:83], s[44:45]
	v_add_f64 v[32:33], v[36:37], v[32:33]
	v_fma_f64 v[36:37], v[66:67], s[28:29], v[119:120]
	v_mul_f64 v[125:126], v[108:109], s[14:15]
	v_add_f64 v[24:25], v[34:35], v[24:25]
	v_fma_f64 v[34:35], v[74:75], s[38:39], v[121:122]
	v_add_f64 v[46:47], v[0:1], v[46:47]
	v_fma_f64 v[127:128], v[48:49], s[34:35], v[123:124]
	v_mul_f64 v[129:130], v[60:61], s[12:13]
	v_add_f64 v[20:21], v[20:21], v[18:19]
	v_fma_f64 v[131:132], v[72:73], s[34:35], v[26:27]
	v_add_f64 v[22:23], v[28:29], v[22:23]
	v_add_f64 v[28:29], v[36:37], v[32:33]
	v_fma_f64 v[32:33], v[92:93], s[16:17], v[125:126]
	v_mul_f64 v[36:37], v[104:105], s[50:51]
	v_add_f64 v[18:19], v[34:35], v[16:17]
	v_add_f64 v[34:35], v[127:128], v[46:47]
	v_fma_f64 v[46:47], v[56:57], s[6:7], v[129:130]
	v_mul_f64 v[127:128], v[106:107], s[36:37]
	v_fma_f64 v[44:45], v[78:79], s[40:41], v[44:45]
	v_fma_f64 v[38:39], v[76:77], s[24:25], -v[38:39]
	v_add_f64 v[16:17], v[131:132], v[24:25]
	v_add_f64 v[24:25], v[32:33], v[28:29]
	v_fma_f64 v[28:29], v[90:91], s[54:55], v[36:37]
	v_mul_f64 v[131:132], v[102:103], s[52:53]
	v_add_f64 v[34:35], v[46:47], v[34:35]
	v_fma_f64 v[46:47], v[64:65], s[14:15], v[127:128]
	v_mul_f64 v[32:33], v[98:99], s[24:25]
	v_add_f64 v[20:21], v[44:45], v[20:21]
	v_add_f64 v[38:39], v[38:39], v[22:23]
	v_fma_f64 v[22:23], v[74:75], s[44:45], v[121:122]
	v_fma_f64 v[30:31], v[54:55], s[46:47], v[30:31]
	v_add_f64 v[24:25], v[28:29], v[24:25]
	v_fma_f64 v[40:41], v[52:53], s[18:19], -v[40:41]
	v_add_f64 v[28:29], v[46:47], v[34:35]
	v_fma_f64 v[34:35], v[88:89], s[50:51], v[131:132]
	v_mul_f64 v[44:45], v[100:101], s[42:43]
	v_fma_f64 v[46:47], v[86:87], s[40:41], v[32:33]
	v_fma_f64 v[42:43], v[58:59], s[38:39], v[42:43]
	v_add_f64 v[30:31], v[2:3], v[30:31]
	v_mul_f64 v[121:122], v[96:97], s[0:1]
	v_add_f64 v[22:23], v[22:23], v[20:21]
	v_add_f64 v[40:41], v[0:1], v[40:41]
	;; [unrolled: 1-line block ×3, first 2 shown]
	v_fma_f64 v[34:35], v[48:49], s[34:35], -v[123:124]
	v_fma_f64 v[26:27], v[72:73], s[34:35], -v[26:27]
	v_fma_f64 v[28:29], v[84:85], s[24:25], v[44:45]
	v_add_f64 v[30:31], v[42:43], v[30:31]
	v_fma_f64 v[42:43], v[66:67], s[12:13], v[119:120]
	v_add_f64 v[24:25], v[46:47], v[24:25]
	v_fma_f64 v[46:47], v[78:79], s[10:11], v[121:122]
	v_mul_f64 v[119:120], v[80:81], s[26:27]
	v_add_f64 v[34:35], v[34:35], v[40:41]
	v_fma_f64 v[40:41], v[56:57], s[6:7], -v[129:130]
	v_add_f64 v[28:29], v[28:29], v[20:21]
	v_add_f64 v[20:21], v[26:27], v[38:39]
	;; [unrolled: 1-line block ×3, first 2 shown]
	v_fma_f64 v[42:43], v[92:93], s[36:37], v[125:126]
	v_add_f64 v[24:25], v[46:47], v[24:25]
	v_fma_f64 v[46:47], v[74:75], s[30:31], v[119:120]
	v_mul_f64 v[125:126], v[114:115], s[34:35]
	v_add_f64 v[34:35], v[40:41], v[34:35]
	v_fma_f64 v[38:39], v[64:65], s[14:15], -v[127:128]
	v_fma_f64 v[36:37], v[90:91], s[52:53], v[36:37]
	v_mul_f64 v[40:41], v[62:63], s[14:15]
	v_add_f64 v[30:31], v[42:43], v[30:31]
	v_mul_f64 v[123:124], v[94:95], s[22:23]
	v_add_f64 v[26:27], v[46:47], v[24:25]
	v_fma_f64 v[24:25], v[54:55], s[38:39], v[125:126]
	v_fma_f64 v[46:47], v[88:89], s[50:51], -v[131:132]
	v_add_f64 v[34:35], v[38:39], v[34:35]
	v_mul_f64 v[38:39], v[112:113], s[44:45]
	v_fma_f64 v[32:33], v[86:87], s[42:43], v[32:33]
	v_add_f64 v[30:31], v[36:37], v[30:31]
	v_fma_f64 v[36:37], v[58:59], s[36:37], v[40:41]
	v_mul_f64 v[127:128], v[110:111], s[24:25]
	v_add_f64 v[24:25], v[2:3], v[24:25]
	v_fma_f64 v[44:45], v[84:85], s[24:25], -v[44:45]
	v_add_f64 v[34:35], v[46:47], v[34:35]
	v_fma_f64 v[129:130], v[76:77], s[0:1], v[123:124]
	v_mul_f64 v[42:43], v[82:83], s[48:49]
	v_fma_f64 v[131:132], v[52:53], s[34:35], v[38:39]
	v_mul_f64 v[133:134], v[50:51], s[16:17]
	v_add_f64 v[30:31], v[32:33], v[30:31]
	v_add_f64 v[24:25], v[36:37], v[24:25]
	v_fma_f64 v[32:33], v[66:67], s[42:43], v[127:128]
	v_mul_f64 v[36:37], v[108:109], s[26:27]
	v_add_f64 v[34:35], v[44:45], v[34:35]
	v_fma_f64 v[44:45], v[76:77], s[0:1], -v[123:124]
	v_add_f64 v[28:29], v[129:130], v[28:29]
	v_fma_f64 v[129:130], v[72:73], s[26:27], v[42:43]
	v_add_f64 v[46:47], v[0:1], v[131:132]
	v_fma_f64 v[131:132], v[48:49], s[14:15], v[133:134]
	v_mul_f64 v[135:136], v[60:61], s[40:41]
	v_fma_f64 v[121:122], v[78:79], s[22:23], v[121:122]
	v_add_f64 v[24:25], v[32:33], v[24:25]
	v_fma_f64 v[32:33], v[92:93], s[48:49], v[36:37]
	v_add_f64 v[34:35], v[44:45], v[34:35]
	v_fma_f64 v[42:43], v[72:73], s[26:27], -v[42:43]
	v_mul_f64 v[123:124], v[104:105], s[0:1]
	v_add_f64 v[46:47], v[131:132], v[46:47]
	v_fma_f64 v[131:132], v[56:57], s[24:25], v[135:136]
	v_mul_f64 v[137:138], v[106:107], s[30:31]
	v_add_f64 v[30:31], v[121:122], v[30:31]
	v_fma_f64 v[44:45], v[74:75], s[48:49], v[119:120]
	v_add_f64 v[32:33], v[32:33], v[24:25]
	v_add_f64 v[24:25], v[129:130], v[28:29]
	;; [unrolled: 1-line block ×3, first 2 shown]
	v_fma_f64 v[34:35], v[54:55], s[44:45], v[125:126]
	v_fma_f64 v[119:120], v[90:91], s[10:11], v[123:124]
	v_add_f64 v[46:47], v[131:132], v[46:47]
	v_fma_f64 v[121:122], v[64:65], s[26:27], v[137:138]
	v_mul_f64 v[129:130], v[102:103], s[22:23]
	v_add_f64 v[30:31], v[44:45], v[30:31]
	v_mul_f64 v[44:45], v[98:99], s[50:51]
	v_fma_f64 v[38:39], v[52:53], s[34:35], -v[38:39]
	v_fma_f64 v[40:41], v[58:59], s[16:17], v[40:41]
	v_add_f64 v[34:35], v[2:3], v[34:35]
	v_add_f64 v[32:33], v[119:120], v[32:33]
	;; [unrolled: 1-line block ×3, first 2 shown]
	v_fma_f64 v[46:47], v[88:89], s[0:1], v[129:130]
	v_mul_f64 v[119:120], v[100:101], s[52:53]
	v_fma_f64 v[121:122], v[86:87], s[54:55], v[44:45]
	v_mul_f64 v[125:126], v[96:97], s[6:7]
	v_fma_f64 v[131:132], v[48:49], s[14:15], -v[133:134]
	v_add_f64 v[38:39], v[0:1], v[38:39]
	v_add_f64 v[34:35], v[40:41], v[34:35]
	v_fma_f64 v[40:41], v[66:67], s[40:41], v[127:128]
	v_add_f64 v[42:43], v[46:47], v[42:43]
	v_fma_f64 v[46:47], v[84:85], s[50:51], v[119:120]
	v_mul_f64 v[133:134], v[94:95], s[12:13]
	v_add_f64 v[32:33], v[121:122], v[32:33]
	v_fma_f64 v[121:122], v[78:79], s[28:29], v[125:126]
	v_add_f64 v[38:39], v[131:132], v[38:39]
	v_fma_f64 v[127:128], v[56:57], s[24:25], -v[135:136]
	v_add_f64 v[34:35], v[40:41], v[34:35]
	v_fma_f64 v[36:37], v[92:93], s[30:31], v[36:37]
	v_add_f64 v[42:43], v[46:47], v[42:43]
	v_fma_f64 v[46:47], v[76:77], s[6:7], v[133:134]
	v_mul_f64 v[131:132], v[80:81], s[18:19]
	v_add_f64 v[32:33], v[121:122], v[32:33]
	v_mul_f64 v[121:122], v[114:115], s[50:51]
	v_add_f64 v[38:39], v[127:128], v[38:39]
	v_fma_f64 v[40:41], v[64:65], s[26:27], -v[137:138]
	v_add_f64 v[36:37], v[36:37], v[34:35]
	v_fma_f64 v[123:124], v[90:91], s[22:23], v[123:124]
	v_add_f64 v[42:43], v[46:47], v[42:43]
	v_fma_f64 v[46:47], v[74:75], s[20:21], v[131:132]
	v_mul_f64 v[127:128], v[82:83], s[46:47]
	v_fma_f64 v[135:136], v[54:55], s[52:53], v[121:122]
	v_mul_f64 v[137:138], v[62:63], s[0:1]
	v_add_f64 v[38:39], v[40:41], v[38:39]
	v_fma_f64 v[40:41], v[88:89], s[0:1], -v[129:130]
	v_add_f64 v[36:37], v[123:124], v[36:37]
	v_fma_f64 v[44:45], v[86:87], s[52:53], v[44:45]
	v_add_f64 v[34:35], v[46:47], v[32:33]
	v_fma_f64 v[32:33], v[72:73], s[18:19], v[127:128]
	;; [unrolled: 2-line block ×3, first 2 shown]
	v_mul_f64 v[135:136], v[110:111], s[34:35]
	v_add_f64 v[38:39], v[40:41], v[38:39]
	v_fma_f64 v[40:41], v[84:85], s[50:51], -v[119:120]
	v_mul_f64 v[119:120], v[112:113], s[54:55]
	v_add_f64 v[36:37], v[44:45], v[36:37]
	v_fma_f64 v[44:45], v[78:79], s[12:13], v[125:126]
	v_add_f64 v[32:33], v[32:33], v[42:43]
	v_add_f64 v[42:43], v[129:130], v[46:47]
	v_mul_f64 v[125:126], v[50:51], s[22:23]
	v_fma_f64 v[129:130], v[76:77], s[6:7], -v[133:134]
	v_add_f64 v[38:39], v[40:41], v[38:39]
	v_fma_f64 v[40:41], v[52:53], s[50:51], v[119:120]
	v_mul_f64 v[139:140], v[60:61], s[38:39]
	v_add_f64 v[36:37], v[44:45], v[36:37]
	v_fma_f64 v[44:45], v[74:75], s[46:47], v[131:132]
	v_fma_f64 v[46:47], v[66:67], s[44:45], v[135:136]
	;; [unrolled: 1-line block ×3, first 2 shown]
	v_mul_f64 v[123:124], v[108:109], s[6:7]
	v_add_f64 v[129:130], v[129:130], v[38:39]
	v_add_f64 v[40:41], v[0:1], v[40:41]
	v_mul_f64 v[133:134], v[104:105], s[26:27]
	v_fma_f64 v[125:126], v[48:49], s[0:1], -v[125:126]
	v_add_f64 v[38:39], v[44:45], v[36:37]
	v_fma_f64 v[36:37], v[54:55], s[54:55], v[121:122]
	v_fma_f64 v[44:45], v[52:53], s[50:51], -v[119:120]
	v_fma_f64 v[119:120], v[56:57], s[34:35], v[139:140]
	v_mul_f64 v[121:122], v[106:107], s[28:29]
	v_add_f64 v[40:41], v[131:132], v[40:41]
	v_fma_f64 v[131:132], v[58:59], s[22:23], v[137:138]
	v_add_f64 v[42:43], v[46:47], v[42:43]
	v_fma_f64 v[46:47], v[92:93], s[12:13], v[123:124]
	v_add_f64 v[36:37], v[2:3], v[36:37]
	v_add_f64 v[44:45], v[0:1], v[44:45]
	v_mul_f64 v[137:138], v[102:103], s[30:31]
	v_fma_f64 v[127:128], v[72:73], s[18:19], -v[127:128]
	v_add_f64 v[40:41], v[119:120], v[40:41]
	v_fma_f64 v[119:120], v[64:65], s[6:7], v[121:122]
	v_fma_f64 v[123:124], v[92:93], s[28:29], v[123:124]
	v_add_f64 v[42:43], v[46:47], v[42:43]
	v_add_f64 v[36:37], v[131:132], v[36:37]
	v_fma_f64 v[131:132], v[66:67], s[38:39], v[135:136]
	v_fma_f64 v[46:47], v[90:91], s[48:49], v[133:134]
	v_add_f64 v[44:45], v[125:126], v[44:45]
	v_fma_f64 v[125:126], v[56:57], s[34:35], -v[139:140]
	v_add_f64 v[40:41], v[119:120], v[40:41]
	v_fma_f64 v[119:120], v[88:89], s[26:27], v[137:138]
	v_mul_f64 v[135:136], v[100:101], s[36:37]
	v_fma_f64 v[121:122], v[64:65], s[6:7], -v[121:122]
	v_add_f64 v[131:132], v[131:132], v[36:37]
	v_add_f64 v[42:43], v[46:47], v[42:43]
	v_mul_f64 v[46:47], v[98:99], s[14:15]
	v_add_f64 v[44:45], v[125:126], v[44:45]
	v_add_f64 v[36:37], v[127:128], v[129:130]
	;; [unrolled: 1-line block ×3, first 2 shown]
	v_fma_f64 v[119:120], v[84:85], s[14:15], v[135:136]
	v_fma_f64 v[127:128], v[90:91], s[30:31], v[133:134]
	v_add_f64 v[123:124], v[123:124], v[131:132]
	v_mul_f64 v[143:144], v[96:97], s[18:19]
	v_fma_f64 v[141:142], v[86:87], s[16:17], v[46:47]
	v_mul_f64 v[125:126], v[94:95], s[20:21]
	v_add_f64 v[44:45], v[121:122], v[44:45]
	v_fma_f64 v[121:122], v[88:89], s[26:27], -v[137:138]
	v_add_f64 v[40:41], v[119:120], v[40:41]
	v_mul_f64 v[119:120], v[114:115], s[26:27]
	v_add_f64 v[123:124], v[127:128], v[123:124]
	v_fma_f64 v[46:47], v[86:87], s[36:37], v[46:47]
	v_add_f64 v[42:43], v[141:142], v[42:43]
	v_fma_f64 v[139:140], v[78:79], s[46:47], v[143:144]
	v_fma_f64 v[129:130], v[76:77], s[18:19], v[125:126]
	v_mul_f64 v[131:132], v[80:81], s[24:25]
	v_add_f64 v[44:45], v[121:122], v[44:45]
	v_fma_f64 v[121:122], v[84:85], s[14:15], -v[135:136]
	v_fma_f64 v[127:128], v[54:55], s[48:49], v[119:120]
	v_mul_f64 v[135:136], v[62:63], s[18:19]
	v_add_f64 v[46:47], v[46:47], v[123:124]
	v_fma_f64 v[123:124], v[78:79], s[20:21], v[143:144]
	v_add_f64 v[42:43], v[139:140], v[42:43]
	v_mul_f64 v[133:134], v[82:83], s[40:41]
	v_add_f64 v[40:41], v[129:130], v[40:41]
	v_fma_f64 v[129:130], v[74:75], s[42:43], v[131:132]
	v_add_f64 v[44:45], v[121:122], v[44:45]
	v_add_f64 v[121:122], v[2:3], v[127:128]
	v_fma_f64 v[127:128], v[58:59], s[20:21], v[135:136]
	v_mul_f64 v[139:140], v[110:111], s[0:1]
	v_fma_f64 v[125:126], v[76:77], s[18:19], -v[125:126]
	v_mul_f64 v[141:142], v[112:113], s[30:31]
	v_add_f64 v[46:47], v[123:124], v[46:47]
	v_fma_f64 v[123:124], v[74:75], s[40:41], v[131:132]
	v_fma_f64 v[137:138], v[72:73], s[24:25], v[133:134]
	v_add_f64 v[42:43], v[129:130], v[42:43]
	v_add_f64 v[121:122], v[127:128], v[121:122]
	v_fma_f64 v[127:128], v[66:67], s[22:23], v[139:140]
	v_add_f64 v[44:45], v[125:126], v[44:45]
	v_fma_f64 v[125:126], v[52:53], s[26:27], v[141:142]
	v_mul_f64 v[129:130], v[50:51], s[46:47]
	v_add_f64 v[46:47], v[123:124], v[46:47]
	v_fma_f64 v[119:120], v[54:55], s[30:31], v[119:120]
	v_fma_f64 v[123:124], v[52:53], s[26:27], -v[141:142]
	v_add_f64 v[40:41], v[137:138], v[40:41]
	v_add_f64 v[121:122], v[127:128], v[121:122]
	v_mul_f64 v[137:138], v[60:61], s[10:11]
	v_add_f64 v[125:126], v[0:1], v[125:126]
	v_fma_f64 v[127:128], v[48:49], s[18:19], v[129:130]
	v_fma_f64 v[135:136], v[58:59], s[46:47], v[135:136]
	v_add_f64 v[119:120], v[2:3], v[119:120]
	v_fma_f64 v[129:130], v[48:49], s[18:19], -v[129:130]
	v_add_f64 v[123:124], v[0:1], v[123:124]
	v_fma_f64 v[131:132], v[72:73], s[24:25], -v[133:134]
	v_mul_f64 v[133:134], v[108:109], s[34:35]
	v_mul_f64 v[145:146], v[106:107], s[38:39]
	v_add_f64 v[125:126], v[127:128], v[125:126]
	v_fma_f64 v[127:128], v[56:57], s[0:1], v[137:138]
	v_add_f64 v[119:120], v[135:136], v[119:120]
	v_fma_f64 v[135:136], v[66:67], s[10:11], v[139:140]
	v_add_f64 v[123:124], v[129:130], v[123:124]
	v_fma_f64 v[129:130], v[56:57], s[0:1], -v[137:138]
	v_fma_f64 v[141:142], v[92:93], s[44:45], v[133:134]
	v_mul_f64 v[143:144], v[104:105], s[24:25]
	v_mul_f64 v[139:140], v[102:103], s[40:41]
	v_add_f64 v[125:126], v[127:128], v[125:126]
	v_fma_f64 v[127:128], v[64:65], s[34:35], v[145:146]
	v_add_f64 v[119:120], v[135:136], v[119:120]
	v_fma_f64 v[133:134], v[92:93], s[38:39], v[133:134]
	v_add_f64 v[123:124], v[129:130], v[123:124]
	v_fma_f64 v[129:130], v[64:65], s[34:35], -v[145:146]
	v_add_f64 v[121:122], v[141:142], v[121:122]
	v_fma_f64 v[137:138], v[90:91], s[42:43], v[143:144]
	v_mul_f64 v[141:142], v[98:99], s[6:7]
	v_add_f64 v[125:126], v[127:128], v[125:126]
	v_fma_f64 v[127:128], v[88:89], s[24:25], v[139:140]
	v_mul_f64 v[135:136], v[100:101], s[12:13]
	v_add_f64 v[119:120], v[133:134], v[119:120]
	v_fma_f64 v[133:134], v[90:91], s[40:41], v[143:144]
	v_add_f64 v[123:124], v[129:130], v[123:124]
	v_fma_f64 v[129:130], v[88:89], s[24:25], -v[139:140]
	v_add_f64 v[121:122], v[137:138], v[121:122]
	v_fma_f64 v[137:138], v[86:87], s[28:29], v[141:142]
	v_mul_f64 v[139:140], v[96:97], s[50:51]
	v_add_f64 v[125:126], v[127:128], v[125:126]
	v_fma_f64 v[127:128], v[84:85], s[6:7], v[135:136]
	v_mul_f64 v[143:144], v[94:95], s[54:55]
	v_add_f64 v[119:120], v[133:134], v[119:120]
	v_fma_f64 v[133:134], v[86:87], s[12:13], v[141:142]
	v_add_f64 v[123:124], v[129:130], v[123:124]
	v_fma_f64 v[129:130], v[84:85], s[6:7], -v[135:136]
	v_add_f64 v[121:122], v[137:138], v[121:122]
	v_fma_f64 v[135:136], v[78:79], s[52:53], v[139:140]
	v_add_f64 v[125:126], v[127:128], v[125:126]
	v_fma_f64 v[127:128], v[76:77], s[50:51], v[143:144]
	v_mul_f64 v[137:138], v[80:81], s[14:15]
	v_mul_f64 v[141:142], v[82:83], s[36:37]
	v_add_f64 v[119:120], v[133:134], v[119:120]
	v_fma_f64 v[133:134], v[78:79], s[54:55], v[139:140]
	v_add_f64 v[123:124], v[129:130], v[123:124]
	v_fma_f64 v[129:130], v[76:77], s[50:51], -v[143:144]
	v_add_f64 v[44:45], v[131:132], v[44:45]
	v_mul_f64 v[131:132], v[114:115], s[24:25]
	v_add_f64 v[121:122], v[135:136], v[121:122]
	v_add_f64 v[125:126], v[127:128], v[125:126]
	v_fma_f64 v[127:128], v[74:75], s[16:17], v[137:138]
	v_fma_f64 v[135:136], v[72:73], s[14:15], v[141:142]
	v_add_f64 v[133:134], v[133:134], v[119:120]
	v_add_f64 v[123:124], v[129:130], v[123:124]
	v_fma_f64 v[129:130], v[74:75], s[36:37], v[137:138]
	v_fma_f64 v[137:138], v[72:73], s[14:15], -v[141:142]
	v_fma_f64 v[139:140], v[54:55], s[42:43], v[131:132]
	v_mul_f64 v[141:142], v[62:63], s[50:51]
	v_mul_f64 v[114:115], v[114:115], s[6:7]
	v_add_f64 v[119:120], v[135:136], v[125:126]
	v_mul_f64 v[135:136], v[110:111], s[18:19]
	v_add_f64 v[121:122], v[127:128], v[121:122]
	v_add_f64 v[125:126], v[129:130], v[133:134]
	v_mul_f64 v[127:128], v[112:113], s[42:43]
	v_add_f64 v[129:130], v[2:3], v[139:140]
	v_fma_f64 v[133:134], v[58:59], s[54:55], v[141:142]
	v_add_f64 v[123:124], v[137:138], v[123:124]
	v_fma_f64 v[131:132], v[54:55], s[40:41], v[131:132]
	v_fma_f64 v[137:138], v[54:55], s[28:29], v[114:115]
	;; [unrolled: 1-line block ×3, first 2 shown]
	v_mul_f64 v[112:113], v[112:113], s[12:13]
	v_fma_f64 v[139:140], v[52:53], s[24:25], -v[127:128]
	v_mul_f64 v[143:144], v[50:51], s[54:55]
	v_add_f64 v[114:115], v[133:134], v[129:130]
	v_fma_f64 v[129:130], v[66:67], s[46:47], v[135:136]
	v_mul_f64 v[133:134], v[108:109], s[0:1]
	v_fma_f64 v[127:128], v[52:53], s[24:25], v[127:128]
	v_mul_f64 v[147:148], v[60:61], s[46:47]
	v_fma_f64 v[149:150], v[52:53], s[6:7], v[112:113]
	v_fma_f64 v[52:53], v[52:53], s[6:7], -v[112:113]
	v_add_f64 v[139:140], v[0:1], v[139:140]
	v_fma_f64 v[145:146], v[48:49], s[50:51], -v[143:144]
	v_add_f64 v[112:113], v[129:130], v[114:115]
	v_fma_f64 v[114:115], v[92:93], s[22:23], v[133:134]
	v_mul_f64 v[129:130], v[104:105], s[14:15]
	v_mul_f64 v[153:154], v[98:99], s[34:35]
	v_add_f64 v[131:132], v[2:3], v[131:132]
	v_mul_f64 v[151:152], v[106:107], s[22:23]
	v_add_f64 v[137:138], v[2:3], v[137:138]
	v_add_f64 v[139:140], v[145:146], v[139:140]
	v_fma_f64 v[145:146], v[56:57], s[18:19], -v[147:148]
	v_add_f64 v[112:113], v[114:115], v[112:113]
	v_fma_f64 v[114:115], v[90:91], s[16:17], v[129:130]
	v_add_f64 v[2:3], v[2:3], v[54:55]
	v_mul_f64 v[54:55], v[62:63], s[24:25]
	v_mul_f64 v[50:51], v[50:51], s[42:43]
	v_add_f64 v[127:128], v[0:1], v[127:128]
	v_add_f64 v[149:150], v[0:1], v[149:150]
	v_add_f64 v[139:140], v[145:146], v[139:140]
	v_fma_f64 v[145:146], v[64:65], s[0:1], -v[151:152]
	v_add_f64 v[62:63], v[114:115], v[112:113]
	v_fma_f64 v[112:113], v[86:87], s[38:39], v[153:154]
	v_mul_f64 v[155:156], v[102:103], s[16:17]
	v_add_f64 v[0:1], v[0:1], v[52:53]
	v_mul_f64 v[60:61], v[60:61], s[30:31]
	v_mul_f64 v[110:111], v[110:111], s[26:27]
	;; [unrolled: 1-line block ×3, first 2 shown]
	v_add_f64 v[52:53], v[145:146], v[139:140]
	v_mul_f64 v[139:140], v[100:101], s[38:39]
	v_add_f64 v[62:63], v[112:113], v[62:63]
	v_fma_f64 v[112:113], v[48:49], s[24:25], -v[50:51]
	v_fma_f64 v[114:115], v[88:89], s[14:15], -v[155:156]
	v_fma_f64 v[145:146], v[58:59], s[42:43], v[54:55]
	v_mul_f64 v[108:109], v[108:109], s[50:51]
	v_mul_f64 v[102:103], v[102:103], s[44:45]
	v_mul_f64 v[104:105], v[104:105], s[34:35]
	v_fma_f64 v[141:142], v[58:59], s[52:53], v[141:142]
	v_mul_f64 v[98:99], v[98:99], s[18:19]
	v_add_f64 v[0:1], v[112:113], v[0:1]
	v_fma_f64 v[112:113], v[56:57], s[26:27], -v[60:61]
	v_add_f64 v[52:53], v[114:115], v[52:53]
	v_fma_f64 v[114:115], v[84:85], s[34:35], -v[139:140]
	v_add_f64 v[2:3], v[145:146], v[2:3]
	v_fma_f64 v[145:146], v[66:67], s[30:31], v[110:111]
	v_mul_f64 v[157:158], v[96:97], s[26:27]
	v_mul_f64 v[100:101], v[100:101], s[46:47]
	v_add_f64 v[131:132], v[141:142], v[131:132]
	v_add_f64 v[0:1], v[112:113], v[0:1]
	v_fma_f64 v[112:113], v[64:65], s[50:51], -v[106:107]
	v_add_f64 v[52:53], v[114:115], v[52:53]
	v_fma_f64 v[114:115], v[92:93], s[54:55], v[108:109]
	v_add_f64 v[2:3], v[145:146], v[2:3]
	v_fma_f64 v[135:136], v[66:67], s[20:21], v[135:136]
	v_mul_f64 v[96:97], v[96:97], s[14:15]
	v_fma_f64 v[54:55], v[58:59], s[40:41], v[54:55]
	v_mul_f64 v[161:162], v[94:95], s[48:49]
	v_add_f64 v[0:1], v[112:113], v[0:1]
	v_fma_f64 v[112:113], v[88:89], s[34:35], -v[102:103]
	v_fma_f64 v[141:142], v[84:85], s[18:19], -v[100:101]
	v_add_f64 v[2:3], v[114:115], v[2:3]
	v_fma_f64 v[114:115], v[90:91], s[44:45], v[104:105]
	v_mul_f64 v[94:95], v[94:95], s[36:37]
	v_add_f64 v[131:132], v[135:136], v[131:132]
	v_fma_f64 v[133:134], v[92:93], s[10:11], v[133:134]
	v_fma_f64 v[66:67], v[66:67], s[48:49], v[110:111]
	v_add_f64 v[0:1], v[112:113], v[0:1]
	v_fma_f64 v[112:113], v[48:49], s[50:51], v[143:144]
	v_fma_f64 v[48:49], v[48:49], s[24:25], v[50:51]
	v_add_f64 v[2:3], v[114:115], v[2:3]
	v_fma_f64 v[114:115], v[86:87], s[46:47], v[98:99]
	v_add_f64 v[54:55], v[54:55], v[137:138]
	v_add_f64 v[131:132], v[133:134], v[131:132]
	v_fma_f64 v[129:130], v[90:91], s[36:37], v[129:130]
	v_add_f64 v[0:1], v[141:142], v[0:1]
	v_add_f64 v[58:59], v[112:113], v[127:128]
	v_fma_f64 v[112:113], v[56:57], s[18:19], v[147:148]
	v_fma_f64 v[56:57], v[56:57], s[26:27], v[60:61]
	v_add_f64 v[2:3], v[114:115], v[2:3]
	v_fma_f64 v[114:115], v[78:79], s[36:37], v[96:97]
	v_add_f64 v[48:49], v[48:49], v[149:150]
	v_fma_f64 v[127:128], v[76:77], s[14:15], -v[94:95]
	v_add_f64 v[54:55], v[66:67], v[54:55]
	v_fma_f64 v[66:67], v[90:91], s[38:39], v[104:105]
	v_add_f64 v[50:51], v[112:113], v[58:59]
	v_fma_f64 v[58:59], v[64:65], s[0:1], v[151:152]
	v_fma_f64 v[64:65], v[64:65], s[50:51], v[106:107]
	v_add_f64 v[110:111], v[114:115], v[2:3]
	v_fma_f64 v[2:3], v[92:93], s[52:53], v[108:109]
	v_add_f64 v[48:49], v[56:57], v[48:49]
	v_add_f64 v[112:113], v[127:128], v[0:1]
	v_add_f64 v[0:1], v[129:130], v[131:132]
	v_mul_f64 v[60:61], v[80:81], s[6:7]
	v_add_f64 v[50:51], v[58:59], v[50:51]
	v_fma_f64 v[58:59], v[88:89], s[14:15], v[155:156]
	v_fma_f64 v[159:160], v[78:79], s[48:49], v[157:158]
	v_add_f64 v[2:3], v[2:3], v[54:55]
	v_fma_f64 v[54:55], v[86:87], s[44:45], v[153:154]
	v_add_f64 v[48:49], v[64:65], v[48:49]
	v_mul_f64 v[64:65], v[80:81], s[0:1]
	v_mul_f64 v[80:81], v[82:83], s[22:23]
	v_fma_f64 v[145:146], v[76:77], s[26:27], -v[161:162]
	v_add_f64 v[50:51], v[58:59], v[50:51]
	v_fma_f64 v[58:59], v[88:89], s[34:35], v[102:103]
	v_fma_f64 v[88:89], v[84:85], s[34:35], v[139:140]
	v_add_f64 v[0:1], v[54:55], v[0:1]
	v_fma_f64 v[54:55], v[86:87], s[20:21], v[98:99]
	v_add_f64 v[2:3], v[66:67], v[2:3]
	v_fma_f64 v[66:67], v[84:85], s[18:19], v[100:101]
	v_mul_f64 v[90:91], v[82:83], s[28:29]
	v_fma_f64 v[82:83], v[76:77], s[26:27], v[161:162]
	v_add_f64 v[48:49], v[58:59], v[48:49]
	v_fma_f64 v[58:59], v[78:79], s[30:31], v[157:158]
	v_add_f64 v[50:51], v[88:89], v[50:51]
	;; [unrolled: 2-line block ×3, first 2 shown]
	v_fma_f64 v[76:77], v[76:77], s[14:15], v[94:95]
	v_fma_f64 v[84:85], v[74:75], s[22:23], v[64:65]
	v_fma_f64 v[54:55], v[72:73], s[0:1], -v[80:81]
	v_add_f64 v[48:49], v[66:67], v[48:49]
	v_add_f64 v[62:63], v[159:160], v[62:63]
	v_add_f64 v[52:53], v[145:146], v[52:53]
	v_fma_f64 v[56:57], v[74:75], s[28:29], v[60:61]
	v_fma_f64 v[92:93], v[72:73], s[6:7], -v[90:91]
	v_add_f64 v[58:59], v[58:59], v[0:1]
	v_fma_f64 v[60:61], v[74:75], s[12:13], v[60:61]
	v_add_f64 v[66:67], v[82:83], v[50:51]
	v_fma_f64 v[64:65], v[74:75], s[10:11], v[64:65]
	;; [unrolled: 2-line block ×3, first 2 shown]
	v_fma_f64 v[72:73], v[72:73], s[0:1], v[80:81]
	v_add_f64 v[76:77], v[76:77], v[48:49]
	v_add_f64 v[50:51], v[84:85], v[110:111]
	;; [unrolled: 1-line block ×6, first 2 shown]
	v_mul_u32_u24_e32 v60, 0x110, v68
	v_add3_u32 v60, 0, v60, v118
	v_add_f64 v[52:53], v[78:79], v[66:67]
	v_add_f64 v[58:59], v[64:65], v[74:75]
	;; [unrolled: 1-line block ×3, first 2 shown]
	ds_write_b128 v60, v[4:7]
	ds_write_b128 v60, v[48:51] offset:16
	ds_write_b128 v60, v[0:3] offset:32
	;; [unrolled: 1-line block ×16, first 2 shown]
.LBB0_18:
	s_or_b64 exec, exec, s[4:5]
	v_mul_u32_u24_e32 v0, 5, v68
	v_lshlrev_b32_e32 v20, 4, v0
	s_waitcnt lgkmcnt(0)
	s_barrier
	global_load_dwordx4 v[0:3], v20, s[8:9]
	global_load_dwordx4 v[4:7], v20, s[8:9] offset:16
	global_load_dwordx4 v[8:11], v20, s[8:9] offset:32
	;; [unrolled: 1-line block ×4, first 2 shown]
	ds_read_b128 v[20:23], v117
	ds_read_b128 v[24:27], v69 offset:272
	ds_read_b128 v[28:31], v69 offset:544
	;; [unrolled: 1-line block ×5, first 2 shown]
	s_mov_b32 s0, 0xe8584caa
	s_mov_b32 s1, 0x3febb67a
	;; [unrolled: 1-line block ×4, first 2 shown]
	s_waitcnt vmcnt(0) lgkmcnt(0)
	s_barrier
	v_mul_f64 v[44:45], v[26:27], v[2:3]
	v_mul_f64 v[2:3], v[24:25], v[2:3]
	;; [unrolled: 1-line block ×10, first 2 shown]
	v_fma_f64 v[32:33], v[32:33], v[8:9], -v[48:49]
	v_fma_f64 v[8:9], v[34:35], v[8:9], v[10:11]
	v_fma_f64 v[10:11], v[42:43], v[12:13], v[50:51]
	v_fma_f64 v[12:13], v[40:41], v[12:13], -v[14:15]
	v_fma_f64 v[28:29], v[28:29], v[4:5], -v[46:47]
	v_fma_f64 v[4:5], v[30:31], v[4:5], v[6:7]
	v_fma_f64 v[6:7], v[36:37], v[16:17], -v[52:53]
	v_fma_f64 v[14:15], v[38:39], v[16:17], v[18:19]
	;; [unrolled: 2-line block ×3, first 2 shown]
	v_add_f64 v[2:3], v[8:9], v[10:11]
	v_add_f64 v[18:19], v[32:33], v[12:13]
	;; [unrolled: 1-line block ×3, first 2 shown]
	v_add_f64 v[36:37], v[8:9], -v[10:11]
	v_add_f64 v[26:27], v[28:29], v[6:7]
	v_add_f64 v[38:39], v[32:33], -v[12:13]
	v_add_f64 v[30:31], v[4:5], -v[14:15]
	v_add_f64 v[34:35], v[22:23], v[4:5]
	v_fma_f64 v[2:3], v[2:3], -0.5, v[0:1]
	v_fma_f64 v[18:19], v[18:19], -0.5, v[16:17]
	v_add_f64 v[4:5], v[4:5], v[14:15]
	v_add_f64 v[28:29], v[28:29], -v[6:7]
	v_add_f64 v[0:1], v[0:1], v[8:9]
	v_add_f64 v[6:7], v[24:25], v[6:7]
	v_fma_f64 v[8:9], v[26:27], -0.5, v[20:21]
	v_add_f64 v[16:17], v[16:17], v[32:33]
	v_fma_f64 v[20:21], v[38:39], s[4:5], v[2:3]
	v_fma_f64 v[24:25], v[36:37], s[4:5], v[18:19]
	;; [unrolled: 1-line block ×4, first 2 shown]
	v_fma_f64 v[4:5], v[4:5], -0.5, v[22:23]
	v_add_f64 v[10:11], v[0:1], v[10:11]
	v_add_f64 v[14:15], v[34:35], v[14:15]
	;; [unrolled: 1-line block ×3, first 2 shown]
	v_mul_f64 v[0:1], v[20:21], s[0:1]
	v_mul_f64 v[16:17], v[24:25], -0.5
	v_mul_f64 v[22:23], v[18:19], s[4:5]
	v_mul_f64 v[26:27], v[2:3], -0.5
	v_fma_f64 v[32:33], v[30:31], s[0:1], v[8:9]
	v_fma_f64 v[34:35], v[28:29], s[4:5], v[4:5]
	v_fma_f64 v[30:31], v[30:31], s[4:5], v[8:9]
	v_fma_f64 v[28:29], v[28:29], s[0:1], v[4:5]
	v_fma_f64 v[18:19], v[18:19], 0.5, v[0:1]
	v_fma_f64 v[36:37], v[2:3], s[0:1], v[16:17]
	v_fma_f64 v[22:23], v[20:21], 0.5, v[22:23]
	v_fma_f64 v[24:25], v[24:25], s[4:5], v[26:27]
	v_add_f64 v[0:1], v[6:7], v[12:13]
	v_add_f64 v[2:3], v[14:15], v[10:11]
	v_add_f64 v[4:5], v[6:7], -v[12:13]
	v_add_f64 v[6:7], v[14:15], -v[10:11]
	v_add_f64 v[8:9], v[32:33], v[18:19]
	v_add_f64 v[12:13], v[30:31], v[36:37]
	;; [unrolled: 1-line block ×4, first 2 shown]
	v_add_f64 v[16:17], v[32:33], -v[18:19]
	v_add_f64 v[18:19], v[34:35], -v[22:23]
	;; [unrolled: 1-line block ×4, first 2 shown]
	ds_write_b128 v69, v[0:3]
	ds_write_b128 v69, v[4:7] offset:816
	ds_write_b128 v69, v[8:11] offset:272
	;; [unrolled: 1-line block ×5, first 2 shown]
	s_waitcnt lgkmcnt(0)
	s_barrier
	s_and_saveexec_b64 s[0:1], vcc
	s_cbranch_execz .LBB0_20
; %bb.19:
	v_lshl_add_u32 v10, v68, 4, v116
	v_mov_b32_e32 v69, 0
	ds_read_b128 v[0:3], v10
	v_mov_b32_e32 v4, s3
	v_add_co_u32_e32 v11, vcc, s2, v70
	v_addc_co_u32_e32 v12, vcc, v4, v71, vcc
	v_lshlrev_b64 v[4:5], 4, v[68:69]
	v_add_co_u32_e32 v8, vcc, v11, v4
	v_addc_co_u32_e32 v9, vcc, v12, v5, vcc
	ds_read_b128 v[4:7], v10 offset:272
	s_waitcnt lgkmcnt(1)
	global_store_dwordx4 v[8:9], v[0:3], off
	s_nop 0
	v_add_u32_e32 v0, 17, v68
	v_mov_b32_e32 v1, v69
	v_lshlrev_b64 v[0:1], 4, v[0:1]
	v_add_co_u32_e32 v0, vcc, v11, v0
	v_addc_co_u32_e32 v1, vcc, v12, v1, vcc
	s_waitcnt lgkmcnt(0)
	global_store_dwordx4 v[0:1], v[4:7], off
	ds_read_b128 v[0:3], v10 offset:544
	v_add_u32_e32 v4, 34, v68
	v_mov_b32_e32 v5, v69
	v_lshlrev_b64 v[4:5], 4, v[4:5]
	v_add_co_u32_e32 v8, vcc, v11, v4
	v_addc_co_u32_e32 v9, vcc, v12, v5, vcc
	ds_read_b128 v[4:7], v10 offset:816
	s_waitcnt lgkmcnt(1)
	global_store_dwordx4 v[8:9], v[0:3], off
	s_nop 0
	v_add_u32_e32 v0, 51, v68
	v_mov_b32_e32 v1, v69
	v_lshlrev_b64 v[0:1], 4, v[0:1]
	v_add_co_u32_e32 v0, vcc, v11, v0
	v_addc_co_u32_e32 v1, vcc, v12, v1, vcc
	s_waitcnt lgkmcnt(0)
	global_store_dwordx4 v[0:1], v[4:7], off
	ds_read_b128 v[0:3], v10 offset:1088
	v_add_u32_e32 v4, 0x44, v68
	v_mov_b32_e32 v5, v69
	v_lshlrev_b64 v[4:5], 4, v[4:5]
	v_add_u32_e32 v68, 0x55, v68
	v_add_co_u32_e32 v8, vcc, v11, v4
	v_addc_co_u32_e32 v9, vcc, v12, v5, vcc
	ds_read_b128 v[4:7], v10 offset:1360
	s_waitcnt lgkmcnt(1)
	global_store_dwordx4 v[8:9], v[0:3], off
	s_nop 0
	v_lshlrev_b64 v[0:1], 4, v[68:69]
	v_add_co_u32_e32 v0, vcc, v11, v0
	v_addc_co_u32_e32 v1, vcc, v12, v1, vcc
	s_waitcnt lgkmcnt(0)
	global_store_dwordx4 v[0:1], v[4:7], off
.LBB0_20:
	s_endpgm
	.section	.rodata,"a",@progbits
	.p2align	6, 0x0
	.amdhsa_kernel fft_rtc_fwd_len102_factors_17_6_wgs_119_tpt_17_halfLds_dp_ip_CI_unitstride_sbrr_C2R_dirReg
		.amdhsa_group_segment_fixed_size 0
		.amdhsa_private_segment_fixed_size 0
		.amdhsa_kernarg_size 88
		.amdhsa_user_sgpr_count 6
		.amdhsa_user_sgpr_private_segment_buffer 1
		.amdhsa_user_sgpr_dispatch_ptr 0
		.amdhsa_user_sgpr_queue_ptr 0
		.amdhsa_user_sgpr_kernarg_segment_ptr 1
		.amdhsa_user_sgpr_dispatch_id 0
		.amdhsa_user_sgpr_flat_scratch_init 0
		.amdhsa_user_sgpr_private_segment_size 0
		.amdhsa_uses_dynamic_stack 0
		.amdhsa_system_sgpr_private_segment_wavefront_offset 0
		.amdhsa_system_sgpr_workgroup_id_x 1
		.amdhsa_system_sgpr_workgroup_id_y 0
		.amdhsa_system_sgpr_workgroup_id_z 0
		.amdhsa_system_sgpr_workgroup_info 0
		.amdhsa_system_vgpr_workitem_id 0
		.amdhsa_next_free_vgpr 163
		.amdhsa_next_free_sgpr 56
		.amdhsa_reserve_vcc 1
		.amdhsa_reserve_flat_scratch 0
		.amdhsa_float_round_mode_32 0
		.amdhsa_float_round_mode_16_64 0
		.amdhsa_float_denorm_mode_32 3
		.amdhsa_float_denorm_mode_16_64 3
		.amdhsa_dx10_clamp 1
		.amdhsa_ieee_mode 1
		.amdhsa_fp16_overflow 0
		.amdhsa_exception_fp_ieee_invalid_op 0
		.amdhsa_exception_fp_denorm_src 0
		.amdhsa_exception_fp_ieee_div_zero 0
		.amdhsa_exception_fp_ieee_overflow 0
		.amdhsa_exception_fp_ieee_underflow 0
		.amdhsa_exception_fp_ieee_inexact 0
		.amdhsa_exception_int_div_zero 0
	.end_amdhsa_kernel
	.text
.Lfunc_end0:
	.size	fft_rtc_fwd_len102_factors_17_6_wgs_119_tpt_17_halfLds_dp_ip_CI_unitstride_sbrr_C2R_dirReg, .Lfunc_end0-fft_rtc_fwd_len102_factors_17_6_wgs_119_tpt_17_halfLds_dp_ip_CI_unitstride_sbrr_C2R_dirReg
                                        ; -- End function
	.section	.AMDGPU.csdata,"",@progbits
; Kernel info:
; codeLenInByte = 9436
; NumSgprs: 60
; NumVgprs: 163
; ScratchSize: 0
; MemoryBound: 0
; FloatMode: 240
; IeeeMode: 1
; LDSByteSize: 0 bytes/workgroup (compile time only)
; SGPRBlocks: 7
; VGPRBlocks: 40
; NumSGPRsForWavesPerEU: 60
; NumVGPRsForWavesPerEU: 163
; Occupancy: 1
; WaveLimiterHint : 1
; COMPUTE_PGM_RSRC2:SCRATCH_EN: 0
; COMPUTE_PGM_RSRC2:USER_SGPR: 6
; COMPUTE_PGM_RSRC2:TRAP_HANDLER: 0
; COMPUTE_PGM_RSRC2:TGID_X_EN: 1
; COMPUTE_PGM_RSRC2:TGID_Y_EN: 0
; COMPUTE_PGM_RSRC2:TGID_Z_EN: 0
; COMPUTE_PGM_RSRC2:TIDIG_COMP_CNT: 0
	.type	__hip_cuid_7899e778c1fd0afd,@object ; @__hip_cuid_7899e778c1fd0afd
	.section	.bss,"aw",@nobits
	.globl	__hip_cuid_7899e778c1fd0afd
__hip_cuid_7899e778c1fd0afd:
	.byte	0                               ; 0x0
	.size	__hip_cuid_7899e778c1fd0afd, 1

	.ident	"AMD clang version 19.0.0git (https://github.com/RadeonOpenCompute/llvm-project roc-6.4.0 25133 c7fe45cf4b819c5991fe208aaa96edf142730f1d)"
	.section	".note.GNU-stack","",@progbits
	.addrsig
	.addrsig_sym __hip_cuid_7899e778c1fd0afd
	.amdgpu_metadata
---
amdhsa.kernels:
  - .args:
      - .actual_access:  read_only
        .address_space:  global
        .offset:         0
        .size:           8
        .value_kind:     global_buffer
      - .offset:         8
        .size:           8
        .value_kind:     by_value
      - .actual_access:  read_only
        .address_space:  global
        .offset:         16
        .size:           8
        .value_kind:     global_buffer
      - .actual_access:  read_only
        .address_space:  global
        .offset:         24
        .size:           8
        .value_kind:     global_buffer
      - .offset:         32
        .size:           8
        .value_kind:     by_value
      - .actual_access:  read_only
        .address_space:  global
        .offset:         40
        .size:           8
        .value_kind:     global_buffer
      - .actual_access:  read_only
        .address_space:  global
        .offset:         48
        .size:           8
        .value_kind:     global_buffer
      - .offset:         56
        .size:           4
        .value_kind:     by_value
      - .actual_access:  read_only
        .address_space:  global
        .offset:         64
        .size:           8
        .value_kind:     global_buffer
      - .actual_access:  read_only
        .address_space:  global
        .offset:         72
        .size:           8
        .value_kind:     global_buffer
      - .address_space:  global
        .offset:         80
        .size:           8
        .value_kind:     global_buffer
    .group_segment_fixed_size: 0
    .kernarg_segment_align: 8
    .kernarg_segment_size: 88
    .language:       OpenCL C
    .language_version:
      - 2
      - 0
    .max_flat_workgroup_size: 119
    .name:           fft_rtc_fwd_len102_factors_17_6_wgs_119_tpt_17_halfLds_dp_ip_CI_unitstride_sbrr_C2R_dirReg
    .private_segment_fixed_size: 0
    .sgpr_count:     60
    .sgpr_spill_count: 0
    .symbol:         fft_rtc_fwd_len102_factors_17_6_wgs_119_tpt_17_halfLds_dp_ip_CI_unitstride_sbrr_C2R_dirReg.kd
    .uniform_work_group_size: 1
    .uses_dynamic_stack: false
    .vgpr_count:     163
    .vgpr_spill_count: 0
    .wavefront_size: 64
amdhsa.target:   amdgcn-amd-amdhsa--gfx906
amdhsa.version:
  - 1
  - 2
...

	.end_amdgpu_metadata
